;; amdgpu-corpus repo=ROCm/rocFFT kind=compiled arch=gfx1100 opt=O3
	.text
	.amdgcn_target "amdgcn-amd-amdhsa--gfx1100"
	.amdhsa_code_object_version 6
	.protected	fft_rtc_fwd_len144_factors_6_6_4_wgs_120_tpt_12_halfLds_dp_ip_CI_unitstride_sbrr_C2R_dirReg ; -- Begin function fft_rtc_fwd_len144_factors_6_6_4_wgs_120_tpt_12_halfLds_dp_ip_CI_unitstride_sbrr_C2R_dirReg
	.globl	fft_rtc_fwd_len144_factors_6_6_4_wgs_120_tpt_12_halfLds_dp_ip_CI_unitstride_sbrr_C2R_dirReg
	.p2align	8
	.type	fft_rtc_fwd_len144_factors_6_6_4_wgs_120_tpt_12_halfLds_dp_ip_CI_unitstride_sbrr_C2R_dirReg,@function
fft_rtc_fwd_len144_factors_6_6_4_wgs_120_tpt_12_halfLds_dp_ip_CI_unitstride_sbrr_C2R_dirReg: ; @fft_rtc_fwd_len144_factors_6_6_4_wgs_120_tpt_12_halfLds_dp_ip_CI_unitstride_sbrr_C2R_dirReg
; %bb.0:
	s_load_b128 s[4:7], s[0:1], 0x0
	v_mul_u32_u24_e32 v1, 0x1556, v0
	s_clause 0x1
	s_load_b64 s[8:9], s[0:1], 0x50
	s_load_b64 s[10:11], s[0:1], 0x18
	v_mov_b32_e32 v3, 0
	v_lshrrev_b32_e32 v4, 16, v1
	s_delay_alu instid0(VALU_DEP_1) | instskip(SKIP_3) | instid1(VALU_DEP_1)
	v_mad_u64_u32 v[1:2], null, s15, 10, v[4:5]
	v_mov_b32_e32 v5, 0
	v_mov_b32_e32 v6, 0
	;; [unrolled: 1-line block ×4, first 2 shown]
	s_waitcnt lgkmcnt(0)
	v_cmp_lt_u64_e64 s2, s[6:7], 2
	v_mov_b32_e32 v9, v1
	s_delay_alu instid0(VALU_DEP_2)
	s_and_b32 vcc_lo, exec_lo, s2
	s_cbranch_vccnz .LBB0_8
; %bb.1:
	s_load_b64 s[2:3], s[0:1], 0x10
	v_dual_mov_b32 v5, 0 :: v_dual_mov_b32 v8, v2
	s_add_u32 s12, s10, 8
	v_dual_mov_b32 v6, 0 :: v_dual_mov_b32 v7, v1
	s_addc_u32 s13, s11, 0
	s_mov_b64 s[16:17], 1
	s_waitcnt lgkmcnt(0)
	s_add_u32 s14, s2, 8
	s_addc_u32 s15, s3, 0
.LBB0_2:                                ; =>This Inner Loop Header: Depth=1
	s_load_b64 s[18:19], s[14:15], 0x0
                                        ; implicit-def: $vgpr9_vgpr10
	s_mov_b32 s2, exec_lo
	s_waitcnt lgkmcnt(0)
	v_or_b32_e32 v4, s19, v8
	s_delay_alu instid0(VALU_DEP_1)
	v_cmpx_ne_u64_e32 0, v[3:4]
	s_xor_b32 s3, exec_lo, s2
	s_cbranch_execz .LBB0_4
; %bb.3:                                ;   in Loop: Header=BB0_2 Depth=1
	v_cvt_f32_u32_e32 v2, s18
	v_cvt_f32_u32_e32 v4, s19
	s_sub_u32 s2, 0, s18
	s_subb_u32 s20, 0, s19
	s_delay_alu instid0(VALU_DEP_1) | instskip(NEXT) | instid1(VALU_DEP_1)
	v_fmac_f32_e32 v2, 0x4f800000, v4
	v_rcp_f32_e32 v2, v2
	s_waitcnt_depctr 0xfff
	v_mul_f32_e32 v2, 0x5f7ffffc, v2
	s_delay_alu instid0(VALU_DEP_1) | instskip(NEXT) | instid1(VALU_DEP_1)
	v_mul_f32_e32 v4, 0x2f800000, v2
	v_trunc_f32_e32 v4, v4
	s_delay_alu instid0(VALU_DEP_1) | instskip(SKIP_1) | instid1(VALU_DEP_2)
	v_fmac_f32_e32 v2, 0xcf800000, v4
	v_cvt_u32_f32_e32 v4, v4
	v_cvt_u32_f32_e32 v2, v2
	s_delay_alu instid0(VALU_DEP_2) | instskip(NEXT) | instid1(VALU_DEP_2)
	v_mul_lo_u32 v9, s2, v4
	v_mul_hi_u32 v10, s2, v2
	v_mul_lo_u32 v11, s20, v2
	s_delay_alu instid0(VALU_DEP_2) | instskip(SKIP_1) | instid1(VALU_DEP_2)
	v_add_nc_u32_e32 v9, v10, v9
	v_mul_lo_u32 v10, s2, v2
	v_add_nc_u32_e32 v9, v9, v11
	s_delay_alu instid0(VALU_DEP_2) | instskip(NEXT) | instid1(VALU_DEP_2)
	v_mul_hi_u32 v11, v2, v10
	v_mul_lo_u32 v12, v2, v9
	v_mul_hi_u32 v13, v2, v9
	v_mul_hi_u32 v14, v4, v10
	v_mul_lo_u32 v10, v4, v10
	v_mul_hi_u32 v15, v4, v9
	v_mul_lo_u32 v9, v4, v9
	v_add_co_u32 v11, vcc_lo, v11, v12
	v_add_co_ci_u32_e32 v12, vcc_lo, 0, v13, vcc_lo
	s_delay_alu instid0(VALU_DEP_2) | instskip(NEXT) | instid1(VALU_DEP_2)
	v_add_co_u32 v10, vcc_lo, v11, v10
	v_add_co_ci_u32_e32 v10, vcc_lo, v12, v14, vcc_lo
	v_add_co_ci_u32_e32 v11, vcc_lo, 0, v15, vcc_lo
	s_delay_alu instid0(VALU_DEP_2) | instskip(NEXT) | instid1(VALU_DEP_2)
	v_add_co_u32 v9, vcc_lo, v10, v9
	v_add_co_ci_u32_e32 v10, vcc_lo, 0, v11, vcc_lo
	s_delay_alu instid0(VALU_DEP_2) | instskip(NEXT) | instid1(VALU_DEP_2)
	v_add_co_u32 v2, vcc_lo, v2, v9
	v_add_co_ci_u32_e32 v4, vcc_lo, v4, v10, vcc_lo
	s_delay_alu instid0(VALU_DEP_2) | instskip(SKIP_1) | instid1(VALU_DEP_3)
	v_mul_hi_u32 v9, s2, v2
	v_mul_lo_u32 v11, s20, v2
	v_mul_lo_u32 v10, s2, v4
	s_delay_alu instid0(VALU_DEP_1) | instskip(SKIP_1) | instid1(VALU_DEP_2)
	v_add_nc_u32_e32 v9, v9, v10
	v_mul_lo_u32 v10, s2, v2
	v_add_nc_u32_e32 v9, v9, v11
	s_delay_alu instid0(VALU_DEP_2) | instskip(NEXT) | instid1(VALU_DEP_2)
	v_mul_hi_u32 v11, v2, v10
	v_mul_lo_u32 v12, v2, v9
	v_mul_hi_u32 v13, v2, v9
	v_mul_hi_u32 v14, v4, v10
	v_mul_lo_u32 v10, v4, v10
	v_mul_hi_u32 v15, v4, v9
	v_mul_lo_u32 v9, v4, v9
	v_add_co_u32 v11, vcc_lo, v11, v12
	v_add_co_ci_u32_e32 v12, vcc_lo, 0, v13, vcc_lo
	s_delay_alu instid0(VALU_DEP_2) | instskip(NEXT) | instid1(VALU_DEP_2)
	v_add_co_u32 v10, vcc_lo, v11, v10
	v_add_co_ci_u32_e32 v10, vcc_lo, v12, v14, vcc_lo
	v_add_co_ci_u32_e32 v11, vcc_lo, 0, v15, vcc_lo
	s_delay_alu instid0(VALU_DEP_2) | instskip(NEXT) | instid1(VALU_DEP_2)
	v_add_co_u32 v9, vcc_lo, v10, v9
	v_add_co_ci_u32_e32 v10, vcc_lo, 0, v11, vcc_lo
	s_delay_alu instid0(VALU_DEP_2) | instskip(NEXT) | instid1(VALU_DEP_2)
	v_add_co_u32 v2, vcc_lo, v2, v9
	v_add_co_ci_u32_e32 v4, vcc_lo, v4, v10, vcc_lo
	s_delay_alu instid0(VALU_DEP_2) | instskip(SKIP_1) | instid1(VALU_DEP_3)
	v_mul_hi_u32 v15, v7, v2
	v_mad_u64_u32 v[11:12], null, v8, v2, 0
	v_mad_u64_u32 v[9:10], null, v7, v4, 0
	;; [unrolled: 1-line block ×3, first 2 shown]
	s_delay_alu instid0(VALU_DEP_2) | instskip(NEXT) | instid1(VALU_DEP_3)
	v_add_co_u32 v2, vcc_lo, v15, v9
	v_add_co_ci_u32_e32 v4, vcc_lo, 0, v10, vcc_lo
	s_delay_alu instid0(VALU_DEP_2) | instskip(NEXT) | instid1(VALU_DEP_2)
	v_add_co_u32 v2, vcc_lo, v2, v11
	v_add_co_ci_u32_e32 v2, vcc_lo, v4, v12, vcc_lo
	v_add_co_ci_u32_e32 v4, vcc_lo, 0, v14, vcc_lo
	s_delay_alu instid0(VALU_DEP_2) | instskip(NEXT) | instid1(VALU_DEP_2)
	v_add_co_u32 v2, vcc_lo, v2, v13
	v_add_co_ci_u32_e32 v4, vcc_lo, 0, v4, vcc_lo
	s_delay_alu instid0(VALU_DEP_2) | instskip(SKIP_1) | instid1(VALU_DEP_3)
	v_mul_lo_u32 v11, s19, v2
	v_mad_u64_u32 v[9:10], null, s18, v2, 0
	v_mul_lo_u32 v12, s18, v4
	s_delay_alu instid0(VALU_DEP_2) | instskip(NEXT) | instid1(VALU_DEP_2)
	v_sub_co_u32 v9, vcc_lo, v7, v9
	v_add3_u32 v10, v10, v12, v11
	s_delay_alu instid0(VALU_DEP_1) | instskip(NEXT) | instid1(VALU_DEP_1)
	v_sub_nc_u32_e32 v11, v8, v10
	v_subrev_co_ci_u32_e64 v11, s2, s19, v11, vcc_lo
	v_add_co_u32 v12, s2, v2, 2
	s_delay_alu instid0(VALU_DEP_1) | instskip(SKIP_3) | instid1(VALU_DEP_3)
	v_add_co_ci_u32_e64 v13, s2, 0, v4, s2
	v_sub_co_u32 v14, s2, v9, s18
	v_sub_co_ci_u32_e32 v10, vcc_lo, v8, v10, vcc_lo
	v_subrev_co_ci_u32_e64 v11, s2, 0, v11, s2
	v_cmp_le_u32_e32 vcc_lo, s18, v14
	s_delay_alu instid0(VALU_DEP_3) | instskip(SKIP_1) | instid1(VALU_DEP_4)
	v_cmp_eq_u32_e64 s2, s19, v10
	v_cndmask_b32_e64 v14, 0, -1, vcc_lo
	v_cmp_le_u32_e32 vcc_lo, s19, v11
	v_cndmask_b32_e64 v15, 0, -1, vcc_lo
	v_cmp_le_u32_e32 vcc_lo, s18, v9
	;; [unrolled: 2-line block ×3, first 2 shown]
	v_cndmask_b32_e64 v16, 0, -1, vcc_lo
	v_cmp_eq_u32_e32 vcc_lo, s19, v11
	s_delay_alu instid0(VALU_DEP_2) | instskip(SKIP_3) | instid1(VALU_DEP_3)
	v_cndmask_b32_e64 v9, v16, v9, s2
	v_cndmask_b32_e32 v11, v15, v14, vcc_lo
	v_add_co_u32 v14, vcc_lo, v2, 1
	v_add_co_ci_u32_e32 v15, vcc_lo, 0, v4, vcc_lo
	v_cmp_ne_u32_e32 vcc_lo, 0, v11
	s_delay_alu instid0(VALU_DEP_2) | instskip(SKIP_1) | instid1(VALU_DEP_2)
	v_dual_cndmask_b32 v10, v15, v13 :: v_dual_cndmask_b32 v11, v14, v12
	v_cmp_ne_u32_e32 vcc_lo, 0, v9
	v_dual_cndmask_b32 v10, v4, v10 :: v_dual_cndmask_b32 v9, v2, v11
.LBB0_4:                                ;   in Loop: Header=BB0_2 Depth=1
	s_and_not1_saveexec_b32 s2, s3
	s_cbranch_execz .LBB0_6
; %bb.5:                                ;   in Loop: Header=BB0_2 Depth=1
	v_cvt_f32_u32_e32 v2, s18
	s_sub_i32 s3, 0, s18
	s_delay_alu instid0(VALU_DEP_1) | instskip(SKIP_2) | instid1(VALU_DEP_1)
	v_rcp_iflag_f32_e32 v2, v2
	s_waitcnt_depctr 0xfff
	v_mul_f32_e32 v2, 0x4f7ffffe, v2
	v_cvt_u32_f32_e32 v2, v2
	s_delay_alu instid0(VALU_DEP_1) | instskip(NEXT) | instid1(VALU_DEP_1)
	v_mul_lo_u32 v4, s3, v2
	v_mul_hi_u32 v4, v2, v4
	s_delay_alu instid0(VALU_DEP_1) | instskip(NEXT) | instid1(VALU_DEP_1)
	v_add_nc_u32_e32 v2, v2, v4
	v_mul_hi_u32 v2, v7, v2
	s_delay_alu instid0(VALU_DEP_1) | instskip(SKIP_1) | instid1(VALU_DEP_2)
	v_mul_lo_u32 v4, v2, s18
	v_add_nc_u32_e32 v9, 1, v2
	v_sub_nc_u32_e32 v4, v7, v4
	s_delay_alu instid0(VALU_DEP_1) | instskip(SKIP_1) | instid1(VALU_DEP_2)
	v_subrev_nc_u32_e32 v10, s18, v4
	v_cmp_le_u32_e32 vcc_lo, s18, v4
	v_cndmask_b32_e32 v4, v4, v10, vcc_lo
	v_mov_b32_e32 v10, v3
	v_cndmask_b32_e32 v2, v2, v9, vcc_lo
	s_delay_alu instid0(VALU_DEP_3) | instskip(NEXT) | instid1(VALU_DEP_2)
	v_cmp_le_u32_e32 vcc_lo, s18, v4
	v_add_nc_u32_e32 v9, 1, v2
	s_delay_alu instid0(VALU_DEP_1)
	v_cndmask_b32_e32 v9, v2, v9, vcc_lo
.LBB0_6:                                ;   in Loop: Header=BB0_2 Depth=1
	s_or_b32 exec_lo, exec_lo, s2
	s_load_b64 s[2:3], s[12:13], 0x0
	v_mul_lo_u32 v2, v10, s18
	s_delay_alu instid0(VALU_DEP_2)
	v_mul_lo_u32 v4, v9, s19
	v_mad_u64_u32 v[11:12], null, v9, s18, 0
	s_add_u32 s16, s16, 1
	s_addc_u32 s17, s17, 0
	s_add_u32 s12, s12, 8
	s_addc_u32 s13, s13, 0
	;; [unrolled: 2-line block ×3, first 2 shown]
	s_delay_alu instid0(VALU_DEP_1) | instskip(SKIP_1) | instid1(VALU_DEP_2)
	v_add3_u32 v2, v12, v4, v2
	v_sub_co_u32 v4, vcc_lo, v7, v11
	v_sub_co_ci_u32_e32 v2, vcc_lo, v8, v2, vcc_lo
	s_waitcnt lgkmcnt(0)
	s_delay_alu instid0(VALU_DEP_2) | instskip(NEXT) | instid1(VALU_DEP_2)
	v_mul_lo_u32 v11, s3, v4
	v_mul_lo_u32 v2, s2, v2
	v_mad_u64_u32 v[7:8], null, s2, v4, v[5:6]
	v_cmp_ge_u64_e64 s2, s[16:17], s[6:7]
	s_delay_alu instid0(VALU_DEP_1) | instskip(NEXT) | instid1(VALU_DEP_2)
	s_and_b32 vcc_lo, exec_lo, s2
	v_add3_u32 v6, v11, v8, v2
	s_delay_alu instid0(VALU_DEP_3)
	v_mov_b32_e32 v5, v7
	s_cbranch_vccnz .LBB0_8
; %bb.7:                                ;   in Loop: Header=BB0_2 Depth=1
	v_dual_mov_b32 v7, v9 :: v_dual_mov_b32 v8, v10
	s_branch .LBB0_2
.LBB0_8:
	s_lshl_b64 s[2:3], s[6:7], 3
	v_mul_hi_u32 v2, 0xcccccccd, v1
	s_add_u32 s2, s10, s2
	s_addc_u32 s3, s11, s3
	s_load_b64 s[0:1], s[0:1], 0x20
	s_load_b64 s[2:3], s[2:3], 0x0
	v_mul_hi_u32 v3, 0x15555556, v0
	s_delay_alu instid0(VALU_DEP_2) | instskip(NEXT) | instid1(VALU_DEP_2)
	v_lshrrev_b32_e32 v2, 3, v2
	v_mul_u32_u24_e32 v3, 12, v3
	s_delay_alu instid0(VALU_DEP_2) | instskip(NEXT) | instid1(VALU_DEP_1)
	v_mul_lo_u32 v2, v2, 10
	v_sub_nc_u32_e32 v1, v1, v2
	s_waitcnt lgkmcnt(0)
	v_cmp_gt_u64_e32 vcc_lo, s[0:1], v[9:10]
	v_mul_lo_u32 v4, s2, v10
	v_mul_lo_u32 v11, s3, v9
	v_mad_u64_u32 v[7:8], null, s2, v9, v[5:6]
	v_mul_u32_u24_e32 v2, 0x91, v1
	s_delay_alu instid0(VALU_DEP_1) | instskip(NEXT) | instid1(VALU_DEP_3)
	v_lshlrev_b32_e32 v16, 4, v2
	v_add3_u32 v8, v11, v8, v4
	v_sub_nc_u32_e32 v4, v0, v3
	s_delay_alu instid0(VALU_DEP_2)
	v_lshlrev_b64 v[6:7], 4, v[7:8]
	s_and_saveexec_b32 s1, vcc_lo
	s_cbranch_execz .LBB0_12
; %bb.9:
	v_mov_b32_e32 v5, 0
	s_delay_alu instid0(VALU_DEP_2) | instskip(NEXT) | instid1(VALU_DEP_1)
	v_add_co_u32 v0, s0, s8, v6
	v_add_co_ci_u32_e64 v1, s0, s9, v7, s0
	s_delay_alu instid0(VALU_DEP_3) | instskip(SKIP_2) | instid1(VALU_DEP_1)
	v_lshlrev_b64 v[8:9], 4, v[4:5]
	v_lshlrev_b32_e32 v3, 4, v4
	s_mov_b32 s2, exec_lo
	v_add3_u32 v3, 0, v16, v3
	s_delay_alu instid0(VALU_DEP_3) | instskip(NEXT) | instid1(VALU_DEP_1)
	v_add_co_u32 v53, s0, v0, v8
	v_add_co_ci_u32_e64 v54, s0, v1, v9, s0
	s_clause 0xb
	global_load_b128 v[8:11], v[53:54], off
	global_load_b128 v[12:15], v[53:54], off offset:192
	global_load_b128 v[17:20], v[53:54], off offset:384
	;; [unrolled: 1-line block ×11, first 2 shown]
	s_waitcnt vmcnt(11)
	ds_store_b128 v3, v[8:11]
	s_waitcnt vmcnt(10)
	ds_store_b128 v3, v[12:15] offset:192
	s_waitcnt vmcnt(9)
	ds_store_b128 v3, v[17:20] offset:384
	;; [unrolled: 2-line block ×11, first 2 shown]
	v_cmpx_eq_u32_e32 11, v4
	s_cbranch_execz .LBB0_11
; %bb.10:
	global_load_b128 v[8:11], v[0:1], off offset:2304
	v_mov_b32_e32 v4, 11
	s_waitcnt vmcnt(0)
	ds_store_b128 v3, v[8:11] offset:2128
.LBB0_11:
	s_or_b32 exec_lo, exec_lo, s2
.LBB0_12:
	s_delay_alu instid0(SALU_CYCLE_1)
	s_or_b32 exec_lo, exec_lo, s1
	v_lshl_add_u32 v14, v2, 4, 0
	v_lshlrev_b32_e32 v17, 4, v4
	s_waitcnt lgkmcnt(0)
	s_barrier
	buffer_gl0_inv
	s_mov_b32 s1, exec_lo
	v_add_nc_u32_e32 v15, v14, v17
	v_sub_nc_u32_e32 v18, v14, v17
                                        ; implicit-def: $vgpr8_vgpr9
	ds_load_b64 v[10:11], v15
	ds_load_b64 v[12:13], v18 offset:2304
	s_waitcnt lgkmcnt(0)
	v_add_f64 v[0:1], v[10:11], v[12:13]
	v_add_f64 v[2:3], v[10:11], -v[12:13]
	v_cmpx_ne_u32_e32 0, v4
	s_xor_b32 s1, exec_lo, s1
	s_cbranch_execz .LBB0_14
; %bb.13:
	v_mov_b32_e32 v5, 0
	v_add_f64 v[8:9], v[10:11], v[12:13]
	v_add_f64 v[23:24], v[10:11], -v[12:13]
	s_delay_alu instid0(VALU_DEP_3) | instskip(NEXT) | instid1(VALU_DEP_1)
	v_lshlrev_b64 v[0:1], 4, v[4:5]
	v_add_co_u32 v0, s0, s4, v0
	s_delay_alu instid0(VALU_DEP_1)
	v_add_co_ci_u32_e64 v1, s0, s5, v1, s0
	global_load_b128 v[19:22], v[0:1], off offset:2208
	ds_load_b64 v[0:1], v18 offset:2312
	ds_load_b64 v[2:3], v15 offset:8
	s_waitcnt lgkmcnt(0)
	v_add_f64 v[10:11], v[0:1], v[2:3]
	v_add_f64 v[0:1], v[2:3], -v[0:1]
	s_waitcnt vmcnt(0)
	v_fma_f64 v[2:3], v[23:24], v[21:22], v[8:9]
	v_fma_f64 v[8:9], -v[23:24], v[21:22], v[8:9]
	s_delay_alu instid0(VALU_DEP_3) | instskip(SKIP_1) | instid1(VALU_DEP_4)
	v_fma_f64 v[12:13], v[10:11], v[21:22], -v[0:1]
	v_fma_f64 v[21:22], v[10:11], v[21:22], v[0:1]
	v_fma_f64 v[0:1], -v[10:11], v[19:20], v[2:3]
	s_delay_alu instid0(VALU_DEP_4) | instskip(NEXT) | instid1(VALU_DEP_4)
	v_fma_f64 v[10:11], v[10:11], v[19:20], v[8:9]
	v_fma_f64 v[12:13], v[23:24], v[19:20], v[12:13]
	s_delay_alu instid0(VALU_DEP_4)
	v_fma_f64 v[2:3], v[23:24], v[19:20], v[21:22]
	v_dual_mov_b32 v9, v5 :: v_dual_mov_b32 v8, v4
	ds_store_b128 v18, v[10:13] offset:2304
.LBB0_14:
	s_and_not1_saveexec_b32 s0, s1
	s_cbranch_execz .LBB0_16
; %bb.15:
	ds_load_b128 v[8:11], v14 offset:1152
	s_waitcnt lgkmcnt(0)
	v_add_f64 v[19:20], v[8:9], v[8:9]
	v_mul_f64 v[21:22], v[10:11], -2.0
	v_mov_b32_e32 v8, 0
	v_mov_b32_e32 v9, 0
	ds_store_b128 v14, v[19:22] offset:1152
.LBB0_16:
	s_or_b32 exec_lo, exec_lo, s0
	v_lshlrev_b64 v[8:9], 4, v[8:9]
	s_add_u32 s0, s4, 0x8a0
	s_addc_u32 s1, s5, 0
	s_mov_b32 s6, 0xe8584caa
	s_mov_b32 s7, 0x3febb67a
	;; [unrolled: 1-line block ×3, first 2 shown]
	v_add_co_u32 v31, s0, s0, v8
	s_delay_alu instid0(VALU_DEP_1)
	v_add_co_ci_u32_e64 v32, s0, s1, v9, s0
	s_mov_b32 s2, s6
	v_add_nc_u16 v5, v4, 12
	v_cmp_gt_u32_e64 s0, 6, v4
	s_clause 0x1
	global_load_b128 v[8:11], v[31:32], off offset:192
	global_load_b128 v[19:22], v[31:32], off offset:384
	ds_store_b128 v15, v[0:3]
	ds_load_b128 v[0:3], v15 offset:192
	ds_load_b128 v[23:26], v18 offset:2112
	global_load_b128 v[27:30], v[31:32], off offset:576
	s_waitcnt lgkmcnt(0)
	v_add_f64 v[12:13], v[0:1], v[23:24]
	v_add_f64 v[33:34], v[25:26], v[2:3]
	v_add_f64 v[23:24], v[0:1], -v[23:24]
	v_add_f64 v[0:1], v[2:3], -v[25:26]
	s_waitcnt vmcnt(2)
	s_delay_alu instid0(VALU_DEP_2) | instskip(NEXT) | instid1(VALU_DEP_2)
	v_fma_f64 v[2:3], v[23:24], v[10:11], v[12:13]
	v_fma_f64 v[25:26], v[33:34], v[10:11], v[0:1]
	v_fma_f64 v[12:13], -v[23:24], v[10:11], v[12:13]
	v_fma_f64 v[35:36], v[33:34], v[10:11], -v[0:1]
	s_delay_alu instid0(VALU_DEP_4) | instskip(NEXT) | instid1(VALU_DEP_4)
	v_fma_f64 v[0:1], -v[33:34], v[8:9], v[2:3]
	v_fma_f64 v[2:3], v[23:24], v[8:9], v[25:26]
	s_delay_alu instid0(VALU_DEP_4) | instskip(NEXT) | instid1(VALU_DEP_4)
	v_fma_f64 v[10:11], v[33:34], v[8:9], v[12:13]
	v_fma_f64 v[12:13], v[23:24], v[8:9], v[35:36]
	ds_store_b128 v15, v[0:3] offset:192
	ds_store_b128 v18, v[10:13] offset:2112
	ds_load_b128 v[0:3], v15 offset:384
	ds_load_b128 v[8:11], v18 offset:1920
	global_load_b128 v[23:26], v[31:32], off offset:768
	s_waitcnt lgkmcnt(0)
	v_add_f64 v[12:13], v[0:1], v[8:9]
	v_add_f64 v[33:34], v[10:11], v[2:3]
	v_add_f64 v[35:36], v[0:1], -v[8:9]
	v_add_f64 v[0:1], v[2:3], -v[10:11]
	s_waitcnt vmcnt(2)
	s_delay_alu instid0(VALU_DEP_2) | instskip(NEXT) | instid1(VALU_DEP_2)
	v_fma_f64 v[2:3], v[35:36], v[21:22], v[12:13]
	v_fma_f64 v[8:9], v[33:34], v[21:22], v[0:1]
	v_fma_f64 v[10:11], -v[35:36], v[21:22], v[12:13]
	v_fma_f64 v[12:13], v[33:34], v[21:22], -v[0:1]
	s_delay_alu instid0(VALU_DEP_4) | instskip(NEXT) | instid1(VALU_DEP_4)
	v_fma_f64 v[0:1], -v[33:34], v[19:20], v[2:3]
	v_fma_f64 v[2:3], v[35:36], v[19:20], v[8:9]
	s_delay_alu instid0(VALU_DEP_4) | instskip(NEXT) | instid1(VALU_DEP_4)
	v_fma_f64 v[8:9], v[33:34], v[19:20], v[10:11]
	v_fma_f64 v[10:11], v[35:36], v[19:20], v[12:13]
	ds_store_b128 v15, v[0:3] offset:384
	ds_store_b128 v18, v[8:11] offset:1920
	;; [unrolled: 22-line block ×3, first 2 shown]
	ds_load_b128 v[0:3], v15 offset:768
	ds_load_b128 v[8:11], v18 offset:1536
	s_waitcnt lgkmcnt(0)
	v_add_f64 v[12:13], v[0:1], v[8:9]
	v_add_f64 v[27:28], v[10:11], v[2:3]
	v_add_f64 v[29:30], v[0:1], -v[8:9]
	v_add_f64 v[0:1], v[2:3], -v[10:11]
	s_waitcnt vmcnt(1)
	s_delay_alu instid0(VALU_DEP_2) | instskip(NEXT) | instid1(VALU_DEP_2)
	v_fma_f64 v[2:3], v[29:30], v[25:26], v[12:13]
	v_fma_f64 v[8:9], v[27:28], v[25:26], v[0:1]
	v_fma_f64 v[10:11], -v[29:30], v[25:26], v[12:13]
	v_fma_f64 v[12:13], v[27:28], v[25:26], -v[0:1]
	s_delay_alu instid0(VALU_DEP_4) | instskip(NEXT) | instid1(VALU_DEP_4)
	v_fma_f64 v[0:1], -v[27:28], v[23:24], v[2:3]
	v_fma_f64 v[2:3], v[29:30], v[23:24], v[8:9]
	s_delay_alu instid0(VALU_DEP_4) | instskip(NEXT) | instid1(VALU_DEP_4)
	v_fma_f64 v[8:9], v[27:28], v[23:24], v[10:11]
	v_fma_f64 v[10:11], v[29:30], v[23:24], v[12:13]
	ds_store_b128 v15, v[0:3] offset:768
	ds_store_b128 v18, v[8:11] offset:1536
	ds_load_b128 v[0:3], v15 offset:960
	ds_load_b128 v[8:11], v18 offset:1344
	s_waitcnt lgkmcnt(0)
	v_add_f64 v[12:13], v[0:1], v[8:9]
	v_add_f64 v[23:24], v[10:11], v[2:3]
	v_add_f64 v[0:1], v[0:1], -v[8:9]
	v_add_f64 v[2:3], v[2:3], -v[10:11]
	s_waitcnt vmcnt(0)
	s_delay_alu instid0(VALU_DEP_2) | instskip(NEXT) | instid1(VALU_DEP_2)
	v_fma_f64 v[8:9], v[0:1], v[21:22], v[12:13]
	v_fma_f64 v[10:11], v[23:24], v[21:22], v[2:3]
	v_fma_f64 v[12:13], -v[0:1], v[21:22], v[12:13]
	v_fma_f64 v[2:3], v[23:24], v[21:22], -v[2:3]
	s_delay_alu instid0(VALU_DEP_4) | instskip(NEXT) | instid1(VALU_DEP_4)
	v_fma_f64 v[8:9], -v[23:24], v[19:20], v[8:9]
	v_fma_f64 v[10:11], v[0:1], v[19:20], v[10:11]
	s_delay_alu instid0(VALU_DEP_4) | instskip(NEXT) | instid1(VALU_DEP_4)
	v_fma_f64 v[21:22], v[23:24], v[19:20], v[12:13]
	v_fma_f64 v[23:24], v[0:1], v[19:20], v[2:3]
	v_add3_u32 v2, 0, v17, v16
	v_add_nc_u32_e32 v3, -6, v4
	ds_store_b128 v15, v[8:11] offset:960
	ds_store_b128 v18, v[21:24] offset:1344
	s_waitcnt lgkmcnt(0)
	s_barrier
	buffer_gl0_inv
	s_barrier
	buffer_gl0_inv
	ds_load_b128 v[8:11], v2 offset:1920
	ds_load_b128 v[17:20], v2 offset:1152
	;; [unrolled: 1-line block ×6, first 2 shown]
	v_cndmask_b32_e64 v3, v3, v4, s0
	s_waitcnt lgkmcnt(4)
	v_add_f64 v[0:1], v[19:20], v[10:11]
	v_add_f64 v[12:13], v[17:18], v[8:9]
	s_waitcnt lgkmcnt(2)
	v_add_f64 v[37:38], v[23:24], v[27:28]
	v_add_f64 v[39:40], v[21:22], v[25:26]
	v_add_f64 v[53:54], v[19:20], -v[10:11]
	v_add_f64 v[55:56], v[17:18], -v[8:9]
	;; [unrolled: 1-line block ×4, first 2 shown]
	s_waitcnt lgkmcnt(1)
	v_add_f64 v[17:18], v[29:30], v[17:18]
	v_add_f64 v[19:20], v[31:32], v[19:20]
	s_waitcnt lgkmcnt(0)
	v_add_f64 v[21:22], v[33:34], v[21:22]
	v_add_f64 v[23:24], v[35:36], v[23:24]
	v_fma_f64 v[0:1], v[0:1], -0.5, v[31:32]
	v_fma_f64 v[12:13], v[12:13], -0.5, v[29:30]
	v_fma_f64 v[65:66], v[37:38], -0.5, v[35:36]
	v_fma_f64 v[67:68], v[39:40], -0.5, v[33:34]
	ds_load_b128 v[37:40], v2 offset:1536
	ds_load_b128 v[41:44], v2 offset:768
	;; [unrolled: 1-line block ×5, first 2 shown]
	v_add_f64 v[17:18], v[17:18], v[8:9]
	v_add_f64 v[19:20], v[19:20], v[10:11]
	;; [unrolled: 1-line block ×4, first 2 shown]
	s_waitcnt lgkmcnt(3)
	v_add_f64 v[69:70], v[41:42], v[37:38]
	v_add_f64 v[71:72], v[43:44], v[39:40]
	s_waitcnt lgkmcnt(1)
	v_add_f64 v[77:78], v[45:46], v[49:50]
	v_add_f64 v[79:80], v[47:48], v[51:52]
	v_add_f64 v[35:36], v[41:42], -v[37:38]
	s_waitcnt lgkmcnt(0)
	v_add_f64 v[29:30], v[57:58], v[45:46]
	v_add_f64 v[31:32], v[59:60], v[47:48]
	v_add_f64 v[47:48], v[47:48], -v[51:52]
	v_add_f64 v[45:46], v[45:46], -v[49:50]
	v_fma_f64 v[73:74], v[55:56], s[2:3], v[0:1]
	v_fma_f64 v[75:76], v[53:54], s[2:3], v[12:13]
	;; [unrolled: 1-line block ×8, first 2 shown]
	ds_load_b128 v[53:56], v15
	v_add_f64 v[67:68], v[43:44], -v[39:40]
	s_waitcnt lgkmcnt(0)
	s_barrier
	buffer_gl0_inv
	v_fma_f64 v[57:58], v[77:78], -0.5, v[57:58]
	v_fma_f64 v[59:60], v[79:80], -0.5, v[59:60]
	v_add_f64 v[29:30], v[29:30], v[49:50]
	v_add_f64 v[65:66], v[53:54], v[41:42]
	;; [unrolled: 1-line block ×3, first 2 shown]
	v_fma_f64 v[33:34], v[69:70], -0.5, v[53:54]
	v_fma_f64 v[41:42], v[71:72], -0.5, v[55:56]
	v_add_f64 v[31:32], v[31:32], v[51:52]
	v_mul_f64 v[53:54], v[73:74], s[6:7]
	v_mul_f64 v[55:56], v[75:76], -0.5
	v_mul_f64 v[69:70], v[12:13], s[2:3]
	v_mul_f64 v[71:72], v[0:1], -0.5
	;; [unrolled: 2-line block ×4, first 2 shown]
	v_add_f64 v[21:22], v[29:30], v[25:26]
	v_add_f64 v[37:38], v[65:66], v[37:38]
	;; [unrolled: 1-line block ×3, first 2 shown]
	v_fma_f64 v[43:44], v[67:68], s[6:7], v[33:34]
	v_fma_f64 v[51:52], v[35:36], s[2:3], v[41:42]
	;; [unrolled: 1-line block ×6, first 2 shown]
	v_add_f64 v[23:24], v[31:32], v[27:28]
	v_add_f64 v[25:26], v[29:30], -v[25:26]
	v_fma_f64 v[12:13], v[12:13], 0.5, v[53:54]
	v_fma_f64 v[0:1], v[0:1], s[6:7], v[55:56]
	v_fma_f64 v[53:54], v[73:74], 0.5, v[69:70]
	v_fma_f64 v[55:56], v[75:76], s[2:3], v[71:72]
	v_fma_f64 v[69:70], v[45:46], s[2:3], v[59:60]
	v_fma_f64 v[61:62], v[61:62], 0.5, v[77:78]
	v_fma_f64 v[71:72], v[81:82], 0.5, v[85:86]
	v_fma_f64 v[59:60], v[45:46], s[6:7], v[59:60]
	v_fma_f64 v[63:64], v[63:64], s[6:7], v[79:80]
	;; [unrolled: 1-line block ×3, first 2 shown]
	v_add_f64 v[27:28], v[31:32], -v[27:28]
	v_and_b32_e32 v75, 0xff, v5
	v_add_f64 v[8:9], v[37:38], v[17:18]
	v_add_f64 v[10:11], v[39:40], v[19:20]
	v_add_f64 v[17:18], v[37:38], -v[17:18]
	v_add_f64 v[19:20], v[39:40], -v[19:20]
	v_add_f64 v[29:30], v[43:44], v[12:13]
	v_add_f64 v[33:34], v[49:50], v[0:1]
	;; [unrolled: 1-line block ×4, first 2 shown]
	v_add_f64 v[37:38], v[43:44], -v[12:13]
	v_add_f64 v[39:40], v[51:52], -v[53:54]
	;; [unrolled: 1-line block ×4, first 2 shown]
	v_add_f64 v[45:46], v[67:68], v[61:62]
	v_add_f64 v[47:48], v[69:70], v[71:72]
	;; [unrolled: 1-line block ×4, first 2 shown]
	v_add_f64 v[53:54], v[67:68], -v[61:62]
	v_add_f64 v[55:56], v[69:70], -v[71:72]
	;; [unrolled: 1-line block ×4, first 2 shown]
	v_mul_lo_u16 v0, 0xab, v75
	v_mov_b32_e32 v1, 0
	s_delay_alu instid0(VALU_DEP_2) | instskip(SKIP_2) | instid1(VALU_DEP_3)
	v_lshrrev_b16 v91, 10, v0
	v_mul_i32_i24_e32 v0, 5, v3
	v_lshlrev_b32_e32 v3, 4, v3
	v_mul_lo_u16 v61, v91, 6
	s_delay_alu instid0(VALU_DEP_3)
	v_lshlrev_b64 v[12:13], 4, v[0:1]
	v_mad_u32_u24 v0, 0x50, v4, v2
	ds_store_b128 v0, v[8:11]
	ds_store_b128 v0, v[29:32] offset:16
	ds_store_b128 v0, v[33:36] offset:32
	;; [unrolled: 1-line block ×11, first 2 shown]
	v_add_co_u32 v12, s0, s4, v12
	s_delay_alu instid0(VALU_DEP_1)
	v_add_co_ci_u32_e64 v13, s0, s5, v13, s0
	s_waitcnt lgkmcnt(0)
	s_barrier
	buffer_gl0_inv
	global_load_b128 v[8:11], v[12:13], off offset:32
	v_sub_nc_u16 v5, v5, v61
	v_mad_i32_i24 v0, 0xffffffb0, v4, v0
	v_cmp_lt_u32_e64 s0, 5, v4
	s_delay_alu instid0(VALU_DEP_3) | instskip(NEXT) | instid1(VALU_DEP_1)
	v_and_b32_e32 v5, 0xff, v5
	v_mul_u32_u24_e32 v17, 5, v5
	v_lshlrev_b32_e32 v5, 4, v5
	s_delay_alu instid0(VALU_DEP_2)
	v_lshlrev_b32_e32 v49, 4, v17
	s_clause 0x8
	global_load_b128 v[17:20], v[12:13], off offset:64
	global_load_b128 v[21:24], v49, s[4:5] offset:32
	global_load_b128 v[25:28], v49, s[4:5] offset:64
	global_load_b128 v[29:32], v[12:13], off
	global_load_b128 v[33:36], v[12:13], off offset:16
	global_load_b128 v[37:40], v49, s[4:5]
	global_load_b128 v[41:44], v[12:13], off offset:48
	global_load_b128 v[45:48], v49, s[4:5] offset:16
	global_load_b128 v[49:52], v49, s[4:5] offset:48
	ds_load_b128 v[53:56], v2 offset:1152
	ds_load_b128 v[57:60], v2 offset:1920
	ds_load_b128 v[61:64], v2 offset:1344
	s_waitcnt vmcnt(9) lgkmcnt(2)
	v_mul_f64 v[73:74], v[55:56], v[10:11]
	v_mul_f64 v[75:76], v[53:54], v[10:11]
	ds_load_b128 v[10:13], v2 offset:2112
	ds_load_b128 v[65:68], v0 offset:384
	;; [unrolled: 1-line block ×3, first 2 shown]
	s_waitcnt vmcnt(8) lgkmcnt(4)
	v_mul_f64 v[77:78], v[59:60], v[19:20]
	v_mul_f64 v[19:20], v[57:58], v[19:20]
	s_waitcnt vmcnt(7) lgkmcnt(3)
	v_mul_f64 v[79:80], v[63:64], v[23:24]
	v_mul_f64 v[23:24], v[61:62], v[23:24]
	;; [unrolled: 3-line block ×3, first 2 shown]
	v_fma_f64 v[83:84], v[53:54], v[8:9], -v[73:74]
	v_fma_f64 v[85:86], v[55:56], v[8:9], v[75:76]
	ds_load_b128 v[53:56], v2 offset:576
	ds_load_b128 v[73:76], v0 offset:192
	v_fma_f64 v[57:58], v[57:58], v[17:18], -v[77:78]
	v_fma_f64 v[59:60], v[59:60], v[17:18], v[19:20]
	s_waitcnt vmcnt(5) lgkmcnt(3)
	v_mul_f64 v[77:78], v[67:68], v[31:32]
	v_mul_f64 v[31:32], v[65:66], v[31:32]
	v_fma_f64 v[61:62], v[61:62], v[21:22], -v[79:80]
	s_waitcnt vmcnt(4) lgkmcnt(2)
	v_mul_f64 v[79:80], v[71:72], v[35:36]
	v_mul_f64 v[35:36], v[69:70], v[35:36]
	v_fma_f64 v[63:64], v[63:64], v[21:22], v[23:24]
	ds_load_b128 v[17:20], v2 offset:960
	s_waitcnt vmcnt(3) lgkmcnt(2)
	v_mul_f64 v[87:88], v[55:56], v[39:40]
	v_mul_f64 v[39:40], v[53:54], v[39:40]
	v_fma_f64 v[12:13], v[12:13], v[25:26], v[81:82]
	v_fma_f64 v[25:26], v[10:11], v[25:26], -v[27:28]
	ds_load_b128 v[8:11], v2 offset:1536
	ds_load_b128 v[21:24], v2 offset:1728
	v_fma_f64 v[27:28], v[65:66], v[29:30], -v[77:78]
	v_fma_f64 v[29:30], v[67:68], v[29:30], v[31:32]
	s_waitcnt vmcnt(2) lgkmcnt(1)
	v_mul_f64 v[31:32], v[10:11], v[43:44]
	v_mul_f64 v[43:44], v[8:9], v[43:44]
	v_fma_f64 v[65:66], v[69:70], v[33:34], -v[79:80]
	v_fma_f64 v[33:34], v[71:72], v[33:34], v[35:36]
	v_add_f64 v[35:36], v[85:86], v[59:60]
	v_add_f64 v[67:68], v[83:84], v[57:58]
	s_waitcnt vmcnt(1)
	v_mul_f64 v[69:70], v[19:20], v[47:48]
	v_mul_f64 v[47:48], v[17:18], v[47:48]
	s_waitcnt vmcnt(0) lgkmcnt(0)
	v_mul_f64 v[71:72], v[23:24], v[51:52]
	v_mul_f64 v[51:52], v[21:22], v[51:52]
	v_fma_f64 v[53:54], v[53:54], v[37:38], -v[87:88]
	v_fma_f64 v[37:38], v[55:56], v[37:38], v[39:40]
	v_add_f64 v[39:40], v[63:64], v[12:13]
	v_add_f64 v[55:56], v[61:62], v[25:26]
	v_fma_f64 v[31:32], v[8:9], v[41:42], -v[31:32]
	v_fma_f64 v[41:42], v[10:11], v[41:42], v[43:44]
	v_add_f64 v[8:9], v[85:86], -v[59:60]
	v_add_f64 v[10:11], v[83:84], -v[57:58]
	v_fma_f64 v[35:36], v[35:36], -0.5, v[29:30]
	v_fma_f64 v[43:44], v[67:68], -0.5, v[27:28]
	v_fma_f64 v[17:18], v[17:18], v[45:46], -v[69:70]
	v_fma_f64 v[19:20], v[19:20], v[45:46], v[47:48]
	v_fma_f64 v[21:22], v[21:22], v[49:50], -v[71:72]
	v_fma_f64 v[23:24], v[23:24], v[49:50], v[51:52]
	v_add_f64 v[45:46], v[63:64], -v[12:13]
	v_add_f64 v[47:48], v[61:62], -v[25:26]
	v_fma_f64 v[39:40], v[39:40], -0.5, v[37:38]
	v_fma_f64 v[49:50], v[55:56], -0.5, v[53:54]
	v_add_f64 v[27:28], v[27:28], v[83:84]
	v_add_f64 v[29:30], v[29:30], v[85:86]
	;; [unrolled: 1-line block ×6, first 2 shown]
	v_fma_f64 v[67:68], v[10:11], s[2:3], v[35:36]
	v_fma_f64 v[69:70], v[8:9], s[2:3], v[43:44]
	;; [unrolled: 1-line block ×4, first 2 shown]
	v_add_f64 v[71:72], v[17:18], v[21:22]
	v_add_f64 v[77:78], v[19:20], v[23:24]
	ds_load_b128 v[8:11], v15
	v_add_f64 v[83:84], v[73:74], v[17:18]
	v_fma_f64 v[79:80], v[47:48], s[2:3], v[39:40]
	v_fma_f64 v[81:82], v[45:46], s[2:3], v[49:50]
	;; [unrolled: 1-line block ×4, first 2 shown]
	v_add_f64 v[49:50], v[33:34], -v[41:42]
	v_add_f64 v[85:86], v[75:76], v[19:20]
	v_add_f64 v[19:20], v[19:20], -v[23:24]
	v_add_f64 v[17:18], v[17:18], -v[21:22]
	v_add_f64 v[27:28], v[27:28], v[57:58]
	v_add_f64 v[29:30], v[29:30], v[59:60]
	;; [unrolled: 1-line block ×4, first 2 shown]
	s_waitcnt lgkmcnt(0)
	s_barrier
	buffer_gl0_inv
	v_add_f64 v[47:48], v[8:9], v[65:66]
	v_add_f64 v[33:34], v[10:11], v[33:34]
	v_fma_f64 v[8:9], v[51:52], -0.5, v[8:9]
	v_add_f64 v[51:52], v[65:66], -v[31:32]
	v_fma_f64 v[10:11], v[55:56], -0.5, v[10:11]
	v_mul_f64 v[55:56], v[67:68], s[6:7]
	v_mul_f64 v[61:62], v[69:70], -0.5
	v_mul_f64 v[63:64], v[43:44], s[2:3]
	v_mul_f64 v[65:66], v[35:36], -0.5
	v_fma_f64 v[71:72], v[71:72], -0.5, v[73:74]
	v_fma_f64 v[73:74], v[77:78], -0.5, v[75:76]
	v_mul_f64 v[75:76], v[79:80], s[6:7]
	v_mul_f64 v[77:78], v[81:82], -0.5
	v_mul_f64 v[87:88], v[45:46], s[2:3]
	v_mul_f64 v[89:90], v[39:40], -0.5
	v_add_f64 v[31:32], v[47:48], v[31:32]
	v_add_f64 v[33:34], v[33:34], v[41:42]
	;; [unrolled: 1-line block ×4, first 2 shown]
	v_fma_f64 v[37:38], v[49:50], s[6:7], v[8:9]
	v_fma_f64 v[49:50], v[49:50], s[2:3], v[8:9]
	;; [unrolled: 1-line block ×4, first 2 shown]
	v_fma_f64 v[43:44], v[43:44], 0.5, v[55:56]
	v_fma_f64 v[55:56], v[35:36], s[6:7], v[61:62]
	v_fma_f64 v[57:58], v[67:68], 0.5, v[63:64]
	v_fma_f64 v[59:60], v[69:70], s[2:3], v[65:66]
	v_fma_f64 v[61:62], v[19:20], s[6:7], v[71:72]
	;; [unrolled: 1-line block ×5, first 2 shown]
	v_fma_f64 v[69:70], v[45:46], 0.5, v[75:76]
	v_fma_f64 v[71:72], v[39:40], s[6:7], v[77:78]
	v_fma_f64 v[73:74], v[79:80], 0.5, v[87:88]
	v_fma_f64 v[75:76], v[81:82], s[2:3], v[89:90]
	v_add_f64 v[8:9], v[31:32], v[27:28]
	v_add_f64 v[10:11], v[33:34], v[29:30]
	v_add_f64 v[17:18], v[31:32], -v[27:28]
	v_add_f64 v[19:20], v[33:34], -v[29:30]
	v_add_f64 v[21:22], v[41:42], v[25:26]
	v_add_f64 v[25:26], v[41:42], -v[25:26]
	v_add_f64 v[23:24], v[47:48], v[12:13]
	v_add_f64 v[27:28], v[47:48], -v[12:13]
	v_cndmask_b32_e64 v12, 0, 0x240, s0
	v_and_b32_e32 v13, 0xffff, v91
	v_add_f64 v[29:30], v[37:38], v[43:44]
	s_delay_alu instid0(VALU_DEP_3)
	v_add_nc_u32_e32 v12, 0, v12
	v_add_f64 v[31:32], v[53:54], v[57:58]
	v_add_f64 v[33:34], v[49:50], v[55:56]
	;; [unrolled: 1-line block ×3, first 2 shown]
	v_add_f64 v[37:38], v[37:38], -v[43:44]
	v_add_f64 v[39:40], v[53:54], -v[57:58]
	;; [unrolled: 1-line block ×4, first 2 shown]
	v_add_f64 v[45:46], v[61:62], v[69:70]
	v_add_f64 v[47:48], v[65:66], v[73:74]
	;; [unrolled: 1-line block ×4, first 2 shown]
	v_add_f64 v[53:54], v[61:62], -v[69:70]
	v_add_f64 v[55:56], v[65:66], -v[73:74]
	;; [unrolled: 1-line block ×4, first 2 shown]
	v_mul_u32_u24_e32 v61, 3, v4
	v_mad_u32_u24 v13, 0x240, v13, 0
	v_add3_u32 v3, v12, v3, v16
	s_delay_alu instid0(VALU_DEP_3) | instskip(NEXT) | instid1(VALU_DEP_3)
	v_lshlrev_b32_e32 v61, 4, v61
	v_add3_u32 v5, v13, v5, v16
	ds_store_b128 v3, v[8:11]
	ds_store_b128 v3, v[29:32] offset:96
	ds_store_b128 v3, v[33:36] offset:192
	;; [unrolled: 1-line block ×5, first 2 shown]
	ds_store_b128 v5, v[21:24]
	ds_store_b128 v5, v[45:48] offset:96
	ds_store_b128 v5, v[49:52] offset:192
	;; [unrolled: 1-line block ×5, first 2 shown]
	s_waitcnt lgkmcnt(0)
	s_barrier
	buffer_gl0_inv
	s_clause 0x8
	global_load_b128 v[8:11], v61, s[4:5] offset:480
	global_load_b128 v[16:19], v61, s[4:5] offset:496
	;; [unrolled: 1-line block ×9, first 2 shown]
	ds_load_b128 v[48:51], v2 offset:576
	ds_load_b128 v[52:55], v2 offset:1152
	;; [unrolled: 1-line block ×3, first 2 shown]
	v_add_nc_u32_e32 v3, 0x800, v0
	ds_load_b128 v[60:63], v2 offset:1536
	s_waitcnt vmcnt(8) lgkmcnt(3)
	v_mul_f64 v[80:81], v[50:51], v[10:11]
	v_mul_f64 v[82:83], v[48:49], v[10:11]
	s_waitcnt vmcnt(7) lgkmcnt(2)
	v_mul_f64 v[84:85], v[54:55], v[18:19]
	v_mul_f64 v[18:19], v[52:53], v[18:19]
	;; [unrolled: 3-line block ×3, first 2 shown]
	ds_load_b128 v[10:13], v2 offset:1344
	ds_load_b128 v[64:67], v2 offset:768
	;; [unrolled: 1-line block ×5, first 2 shown]
	v_fma_f64 v[48:49], v[48:49], v[8:9], -v[80:81]
	v_fma_f64 v[50:51], v[50:51], v[8:9], v[82:83]
	s_waitcnt vmcnt(5) lgkmcnt(3)
	v_mul_f64 v[8:9], v[66:67], v[26:27]
	v_mul_f64 v[26:27], v[64:65], v[26:27]
	s_waitcnt vmcnt(4)
	v_mul_f64 v[80:81], v[12:13], v[30:31]
	v_mul_f64 v[30:31], v[10:11], v[30:31]
	v_fma_f64 v[52:53], v[52:53], v[16:17], -v[84:85]
	v_fma_f64 v[54:55], v[54:55], v[16:17], v[18:19]
	s_waitcnt vmcnt(3) lgkmcnt(2)
	v_mul_f64 v[16:17], v[70:71], v[34:35]
	v_mul_f64 v[18:19], v[68:69], v[34:35]
	s_waitcnt vmcnt(2) lgkmcnt(1)
	v_mul_f64 v[34:35], v[74:75], v[38:39]
	v_mul_f64 v[38:39], v[72:73], v[38:39]
	v_fma_f64 v[56:57], v[56:57], v[20:21], -v[86:87]
	v_fma_f64 v[58:59], v[58:59], v[20:21], v[22:23]
	s_waitcnt vmcnt(1)
	v_mul_f64 v[20:21], v[62:63], v[42:43]
	v_mul_f64 v[22:23], v[60:61], v[42:43]
	s_waitcnt vmcnt(0) lgkmcnt(0)
	v_mul_f64 v[42:43], v[78:79], v[46:47]
	v_mul_f64 v[46:47], v[76:77], v[46:47]
	v_fma_f64 v[64:65], v[64:65], v[24:25], -v[8:9]
	v_fma_f64 v[24:25], v[66:67], v[24:25], v[26:27]
	v_fma_f64 v[26:27], v[10:11], v[28:29], -v[80:81]
	v_fma_f64 v[12:13], v[12:13], v[28:29], v[30:31]
	;; [unrolled: 2-line block ×6, first 2 shown]
	ds_load_b128 v[8:11], v15
	ds_load_b128 v[15:18], v0 offset:192
	ds_load_b128 v[19:22], v0 offset:384
	s_waitcnt lgkmcnt(0)
	s_barrier
	buffer_gl0_inv
	v_add_f64 v[44:45], v[8:9], -v[52:53]
	v_add_f64 v[46:47], v[10:11], -v[54:55]
	;; [unrolled: 1-line block ×12, first 2 shown]
	v_fma_f64 v[56:57], v[8:9], 2.0, -v[44:45]
	v_fma_f64 v[58:59], v[10:11], 2.0, -v[46:47]
	v_fma_f64 v[48:49], v[48:49], 2.0, -v[52:53]
	v_fma_f64 v[50:51], v[50:51], 2.0, -v[54:55]
	v_add_f64 v[8:9], v[44:45], -v[54:55]
	v_add_f64 v[10:11], v[46:47], v[52:53]
	v_fma_f64 v[60:61], v[15:16], 2.0, -v[26:27]
	v_fma_f64 v[62:63], v[17:18], 2.0, -v[12:13]
	v_fma_f64 v[64:65], v[64:65], 2.0, -v[28:29]
	v_fma_f64 v[23:24], v[24:25], 2.0, -v[30:31]
	v_add_f64 v[52:53], v[26:27], -v[30:31]
	v_add_f64 v[54:55], v[12:13], v[28:29]
	;; [unrolled: 6-line block ×3, first 2 shown]
	v_add_f64 v[15:16], v[56:57], -v[48:49]
	v_add_f64 v[17:18], v[58:59], -v[50:51]
	;; [unrolled: 1-line block ×4, first 2 shown]
	v_fma_f64 v[12:13], v[12:13], 2.0, -v[54:55]
	v_add_f64 v[64:65], v[66:67], -v[19:20]
	v_add_f64 v[70:71], v[68:69], -v[21:22]
	v_fma_f64 v[19:20], v[44:45], 2.0, -v[8:9]
	v_fma_f64 v[44:45], v[26:27], 2.0, -v[52:53]
	;; [unrolled: 1-line block ×11, first 2 shown]
	ds_store_b128 v2, v[15:18] offset:1152
	ds_store_b128 v2, v[8:11] offset:1728
	ds_store_b128 v2, v[23:26]
	ds_store_b128 v2, v[19:22] offset:576
	ds_store_b128 v0, v[27:30] offset:192
	ds_store_2addr_b64 v0, v[44:45], v[12:13] offset0:96 offset1:97
	ds_store_2addr_b64 v0, v[48:49], v[50:51] offset0:168 offset1:169
	;; [unrolled: 1-line block ×3, first 2 shown]
	ds_store_b128 v0, v[31:34] offset:384
	ds_store_2addr_b64 v0, v[35:36], v[37:38] offset0:120 offset1:121
	ds_store_2addr_b64 v0, v[64:65], v[70:71] offset0:192 offset1:193
	;; [unrolled: 1-line block ×3, first 2 shown]
	s_waitcnt lgkmcnt(0)
	s_barrier
	buffer_gl0_inv
	s_and_saveexec_b32 s0, vcc_lo
	s_cbranch_execz .LBB0_18
; %bb.17:
	v_lshl_add_u32 v37, v4, 4, v14
	v_dual_mov_b32 v5, v1 :: v_dual_add_nc_u32 v0, 12, v4
	v_add_co_u32 v38, vcc_lo, s8, v6
	ds_load_b128 v[8:11], v37
	ds_load_b128 v[12:15], v37 offset:192
	v_lshlrev_b64 v[2:3], 4, v[4:5]
	v_lshlrev_b64 v[16:17], 4, v[0:1]
	v_add_co_ci_u32_e32 v39, vcc_lo, s9, v7, vcc_lo
	v_add_nc_u32_e32 v0, 24, v4
	s_delay_alu instid0(VALU_DEP_4) | instskip(NEXT) | instid1(VALU_DEP_3)
	v_add_co_u32 v2, vcc_lo, v38, v2
	v_add_co_ci_u32_e32 v3, vcc_lo, v39, v3, vcc_lo
	s_delay_alu instid0(VALU_DEP_3)
	v_lshlrev_b64 v[5:6], 4, v[0:1]
	v_add_co_u32 v16, vcc_lo, v38, v16
	v_add_co_ci_u32_e32 v17, vcc_lo, v39, v17, vcc_lo
	v_add_nc_u32_e32 v0, 36, v4
	s_waitcnt lgkmcnt(1)
	global_store_b128 v[2:3], v[8:11], off
	s_waitcnt lgkmcnt(0)
	global_store_b128 v[16:17], v[12:15], off
	v_add_co_u32 v2, vcc_lo, v38, v5
	v_lshlrev_b64 v[21:22], 4, v[0:1]
	v_add_nc_u32_e32 v0, 48, v4
	v_add_co_ci_u32_e32 v3, vcc_lo, v39, v6, vcc_lo
	ds_load_b128 v[5:8], v37 offset:384
	ds_load_b128 v[9:12], v37 offset:576
	;; [unrolled: 1-line block ×4, first 2 shown]
	v_lshlrev_b64 v[23:24], 4, v[0:1]
	v_add_nc_u32_e32 v0, 60, v4
	v_add_co_u32 v21, vcc_lo, v38, v21
	v_add_co_ci_u32_e32 v22, vcc_lo, v39, v22, vcc_lo
	s_delay_alu instid0(VALU_DEP_3) | instskip(SKIP_3) | instid1(VALU_DEP_3)
	v_lshlrev_b64 v[25:26], 4, v[0:1]
	v_add_nc_u32_e32 v0, 0x48, v4
	v_add_co_u32 v23, vcc_lo, v38, v23
	v_add_co_ci_u32_e32 v24, vcc_lo, v39, v24, vcc_lo
	v_lshlrev_b64 v[27:28], 4, v[0:1]
	v_add_nc_u32_e32 v0, 0x54, v4
	v_add_co_u32 v25, vcc_lo, v38, v25
	v_add_co_ci_u32_e32 v26, vcc_lo, v39, v26, vcc_lo
	s_waitcnt lgkmcnt(3)
	global_store_b128 v[2:3], v[5:8], off
	s_waitcnt lgkmcnt(2)
	global_store_b128 v[21:22], v[9:12], off
	;; [unrolled: 2-line block ×4, first 2 shown]
	v_lshlrev_b64 v[2:3], 4, v[0:1]
	v_add_nc_u32_e32 v0, 0x60, v4
	v_add_co_u32 v29, vcc_lo, v38, v27
	v_add_co_ci_u32_e32 v30, vcc_lo, v39, v28, vcc_lo
	s_delay_alu instid0(VALU_DEP_3) | instskip(SKIP_3) | instid1(VALU_DEP_4)
	v_lshlrev_b64 v[13:14], 4, v[0:1]
	v_add_co_u32 v2, vcc_lo, v38, v2
	v_add_nc_u32_e32 v0, 0x6c, v4
	v_add_co_ci_u32_e32 v3, vcc_lo, v39, v3, vcc_lo
	v_add_co_u32 v33, vcc_lo, v38, v13
	ds_load_b128 v[5:8], v37 offset:1152
	ds_load_b128 v[9:12], v37 offset:1344
	v_add_co_ci_u32_e32 v34, vcc_lo, v39, v14, vcc_lo
	ds_load_b128 v[13:16], v37 offset:1536
	ds_load_b128 v[17:20], v37 offset:1728
	;; [unrolled: 1-line block ×4, first 2 shown]
	v_lshlrev_b64 v[31:32], 4, v[0:1]
	v_add_nc_u32_e32 v0, 0x78, v4
	s_delay_alu instid0(VALU_DEP_1) | instskip(SKIP_1) | instid1(VALU_DEP_4)
	v_lshlrev_b64 v[35:36], 4, v[0:1]
	v_add_nc_u32_e32 v0, 0x84, v4
	v_add_co_u32 v31, vcc_lo, v38, v31
	v_add_co_ci_u32_e32 v32, vcc_lo, v39, v32, vcc_lo
	s_delay_alu instid0(VALU_DEP_3) | instskip(SKIP_2) | instid1(VALU_DEP_3)
	v_lshlrev_b64 v[0:1], 4, v[0:1]
	v_add_co_u32 v35, vcc_lo, v38, v35
	v_add_co_ci_u32_e32 v36, vcc_lo, v39, v36, vcc_lo
	v_add_co_u32 v0, vcc_lo, v38, v0
	s_delay_alu instid0(VALU_DEP_4)
	v_add_co_ci_u32_e32 v1, vcc_lo, v39, v1, vcc_lo
	s_waitcnt lgkmcnt(5)
	global_store_b128 v[29:30], v[5:8], off
	s_waitcnt lgkmcnt(4)
	global_store_b128 v[2:3], v[9:12], off
	;; [unrolled: 2-line block ×6, first 2 shown]
.LBB0_18:
	s_nop 0
	s_sendmsg sendmsg(MSG_DEALLOC_VGPRS)
	s_endpgm
	.section	.rodata,"a",@progbits
	.p2align	6, 0x0
	.amdhsa_kernel fft_rtc_fwd_len144_factors_6_6_4_wgs_120_tpt_12_halfLds_dp_ip_CI_unitstride_sbrr_C2R_dirReg
		.amdhsa_group_segment_fixed_size 0
		.amdhsa_private_segment_fixed_size 0
		.amdhsa_kernarg_size 88
		.amdhsa_user_sgpr_count 15
		.amdhsa_user_sgpr_dispatch_ptr 0
		.amdhsa_user_sgpr_queue_ptr 0
		.amdhsa_user_sgpr_kernarg_segment_ptr 1
		.amdhsa_user_sgpr_dispatch_id 0
		.amdhsa_user_sgpr_private_segment_size 0
		.amdhsa_wavefront_size32 1
		.amdhsa_uses_dynamic_stack 0
		.amdhsa_enable_private_segment 0
		.amdhsa_system_sgpr_workgroup_id_x 1
		.amdhsa_system_sgpr_workgroup_id_y 0
		.amdhsa_system_sgpr_workgroup_id_z 0
		.amdhsa_system_sgpr_workgroup_info 0
		.amdhsa_system_vgpr_workitem_id 0
		.amdhsa_next_free_vgpr 92
		.amdhsa_next_free_sgpr 21
		.amdhsa_reserve_vcc 1
		.amdhsa_float_round_mode_32 0
		.amdhsa_float_round_mode_16_64 0
		.amdhsa_float_denorm_mode_32 3
		.amdhsa_float_denorm_mode_16_64 3
		.amdhsa_dx10_clamp 1
		.amdhsa_ieee_mode 1
		.amdhsa_fp16_overflow 0
		.amdhsa_workgroup_processor_mode 1
		.amdhsa_memory_ordered 1
		.amdhsa_forward_progress 0
		.amdhsa_shared_vgpr_count 0
		.amdhsa_exception_fp_ieee_invalid_op 0
		.amdhsa_exception_fp_denorm_src 0
		.amdhsa_exception_fp_ieee_div_zero 0
		.amdhsa_exception_fp_ieee_overflow 0
		.amdhsa_exception_fp_ieee_underflow 0
		.amdhsa_exception_fp_ieee_inexact 0
		.amdhsa_exception_int_div_zero 0
	.end_amdhsa_kernel
	.text
.Lfunc_end0:
	.size	fft_rtc_fwd_len144_factors_6_6_4_wgs_120_tpt_12_halfLds_dp_ip_CI_unitstride_sbrr_C2R_dirReg, .Lfunc_end0-fft_rtc_fwd_len144_factors_6_6_4_wgs_120_tpt_12_halfLds_dp_ip_CI_unitstride_sbrr_C2R_dirReg
                                        ; -- End function
	.section	.AMDGPU.csdata,"",@progbits
; Kernel info:
; codeLenInByte = 7320
; NumSgprs: 23
; NumVgprs: 92
; ScratchSize: 0
; MemoryBound: 0
; FloatMode: 240
; IeeeMode: 1
; LDSByteSize: 0 bytes/workgroup (compile time only)
; SGPRBlocks: 2
; VGPRBlocks: 11
; NumSGPRsForWavesPerEU: 23
; NumVGPRsForWavesPerEU: 92
; Occupancy: 16
; WaveLimiterHint : 1
; COMPUTE_PGM_RSRC2:SCRATCH_EN: 0
; COMPUTE_PGM_RSRC2:USER_SGPR: 15
; COMPUTE_PGM_RSRC2:TRAP_HANDLER: 0
; COMPUTE_PGM_RSRC2:TGID_X_EN: 1
; COMPUTE_PGM_RSRC2:TGID_Y_EN: 0
; COMPUTE_PGM_RSRC2:TGID_Z_EN: 0
; COMPUTE_PGM_RSRC2:TIDIG_COMP_CNT: 0
	.text
	.p2alignl 7, 3214868480
	.fill 96, 4, 3214868480
	.type	__hip_cuid_7f025357d01820fd,@object ; @__hip_cuid_7f025357d01820fd
	.section	.bss,"aw",@nobits
	.globl	__hip_cuid_7f025357d01820fd
__hip_cuid_7f025357d01820fd:
	.byte	0                               ; 0x0
	.size	__hip_cuid_7f025357d01820fd, 1

	.ident	"AMD clang version 19.0.0git (https://github.com/RadeonOpenCompute/llvm-project roc-6.4.0 25133 c7fe45cf4b819c5991fe208aaa96edf142730f1d)"
	.section	".note.GNU-stack","",@progbits
	.addrsig
	.addrsig_sym __hip_cuid_7f025357d01820fd
	.amdgpu_metadata
---
amdhsa.kernels:
  - .args:
      - .actual_access:  read_only
        .address_space:  global
        .offset:         0
        .size:           8
        .value_kind:     global_buffer
      - .offset:         8
        .size:           8
        .value_kind:     by_value
      - .actual_access:  read_only
        .address_space:  global
        .offset:         16
        .size:           8
        .value_kind:     global_buffer
      - .actual_access:  read_only
        .address_space:  global
        .offset:         24
        .size:           8
        .value_kind:     global_buffer
      - .offset:         32
        .size:           8
        .value_kind:     by_value
      - .actual_access:  read_only
        .address_space:  global
        .offset:         40
        .size:           8
        .value_kind:     global_buffer
      - .actual_access:  read_only
        .address_space:  global
        .offset:         48
        .size:           8
        .value_kind:     global_buffer
      - .offset:         56
        .size:           4
        .value_kind:     by_value
      - .actual_access:  read_only
        .address_space:  global
        .offset:         64
        .size:           8
        .value_kind:     global_buffer
      - .actual_access:  read_only
        .address_space:  global
        .offset:         72
        .size:           8
        .value_kind:     global_buffer
      - .address_space:  global
        .offset:         80
        .size:           8
        .value_kind:     global_buffer
    .group_segment_fixed_size: 0
    .kernarg_segment_align: 8
    .kernarg_segment_size: 88
    .language:       OpenCL C
    .language_version:
      - 2
      - 0
    .max_flat_workgroup_size: 120
    .name:           fft_rtc_fwd_len144_factors_6_6_4_wgs_120_tpt_12_halfLds_dp_ip_CI_unitstride_sbrr_C2R_dirReg
    .private_segment_fixed_size: 0
    .sgpr_count:     23
    .sgpr_spill_count: 0
    .symbol:         fft_rtc_fwd_len144_factors_6_6_4_wgs_120_tpt_12_halfLds_dp_ip_CI_unitstride_sbrr_C2R_dirReg.kd
    .uniform_work_group_size: 1
    .uses_dynamic_stack: false
    .vgpr_count:     92
    .vgpr_spill_count: 0
    .wavefront_size: 32
    .workgroup_processor_mode: 1
amdhsa.target:   amdgcn-amd-amdhsa--gfx1100
amdhsa.version:
  - 1
  - 2
...

	.end_amdgpu_metadata
